;; amdgpu-corpus repo=ROCm/rocFFT kind=compiled arch=gfx1030 opt=O3
	.text
	.amdgcn_target "amdgcn-amd-amdhsa--gfx1030"
	.amdhsa_code_object_version 6
	.protected	bluestein_single_fwd_len756_dim1_sp_op_CI_CI ; -- Begin function bluestein_single_fwd_len756_dim1_sp_op_CI_CI
	.globl	bluestein_single_fwd_len756_dim1_sp_op_CI_CI
	.p2align	8
	.type	bluestein_single_fwd_len756_dim1_sp_op_CI_CI,@function
bluestein_single_fwd_len756_dim1_sp_op_CI_CI: ; @bluestein_single_fwd_len756_dim1_sp_op_CI_CI
; %bb.0:
	s_load_dwordx4 s[8:11], s[4:5], 0x28
	v_mul_u32_u24_e32 v1, 0x411, v0
	v_mov_b32_e32 v99, 0
	s_mov_b32 s0, exec_lo
	v_lshrrev_b32_e32 v1, 16, v1
	v_add_nc_u32_e32 v98, s6, v1
	s_waitcnt lgkmcnt(0)
	v_cmpx_gt_u64_e64 s[8:9], v[98:99]
	s_cbranch_execz .LBB0_10
; %bb.1:
	s_clause 0x1
	s_load_dwordx4 s[0:3], s[4:5], 0x18
	s_load_dwordx4 s[12:15], s[4:5], 0x0
	v_mul_lo_u16 v1, v1, 63
                                        ; implicit-def: $vgpr129
	v_sub_nc_u16 v48, v0, v1
	v_and_b32_e32 v133, 0xffff, v48
	v_lshlrev_b32_e32 v134, 3, v133
	v_add_nc_u32_e32 v161, 0x13b, v133
	v_add_co_u32 v33, null, 0xbd, v133
	s_waitcnt lgkmcnt(0)
	s_load_dwordx4 s[16:19], s[0:1], 0x0
	v_add_co_u32 v8, s0, s12, v134
	v_add_co_ci_u32_e64 v9, null, s13, 0, s0
	s_clause 0x4
	global_load_dwordx2 v[101:102], v134, s[12:13]
	global_load_dwordx2 v[103:104], v134, s[12:13] offset:504
	global_load_dwordx2 v[105:106], v134, s[12:13] offset:1008
	;; [unrolled: 1-line block ×4, first 2 shown]
	v_add_co_u32 v4, vcc_lo, 0x800, v8
	v_add_co_ci_u32_e32 v5, vcc_lo, 0, v9, vcc_lo
	v_add_nc_u32_e32 v50, 0x800, v134
	v_add_nc_u32_e32 v51, 0x1000, v134
	s_clause 0x2
	global_load_dwordx2 v[121:122], v[4:5], off offset:976
	global_load_dwordx2 v[119:120], v[4:5], off offset:1480
	global_load_dwordx2 v[117:118], v[4:5], off offset:1984
	v_add_nc_u32_e32 v148, 0x400, v134
	v_add_nc_u32_e32 v147, 0xc00, v134
	v_add_co_u32 v49, null, v133, 63
	v_add_co_u32 v32, null, 0x7e, v133
	s_waitcnt lgkmcnt(0)
	v_mad_u64_u32 v[0:1], null, s18, v98, 0
	v_mad_u64_u32 v[2:3], null, s16, v133, 0
	s_mul_i32 s0, s17, 0xbd0
	s_mul_hi_u32 s1, s16, 0xbd0
	s_mul_i32 s6, s16, 0xbd0
	s_add_i32 s1, s1, s0
	s_mul_hi_u32 s8, s16, 0xfffff628
	s_mul_i32 s7, s17, 0xfffff628
	v_mad_u64_u32 v[6:7], null, s19, v98, v[1:2]
	v_add_co_u32 v7, vcc_lo, 0x1000, v8
	v_add_co_ci_u32_e32 v8, vcc_lo, 0, v9, vcc_lo
	v_mad_u64_u32 v[9:10], null, s17, v133, v[3:4]
	v_mov_b32_e32 v1, v6
	s_mul_i32 s9, s16, 0xfffff628
	s_sub_i32 s0, s8, s16
	s_clause 0x1
	global_load_dwordx2 v[111:112], v[7:8], off offset:440
	global_load_dwordx2 v[107:108], v[7:8], off offset:944
	s_add_i32 s0, s0, s7
	v_lshlrev_b64 v[0:1], 3, v[0:1]
	v_mov_b32_e32 v3, v9
	v_and_b32_e32 v31, 1, v133
	v_lshlrev_b32_e32 v30, 1, v133
	v_and_b32_e32 v38, 1, v161
	v_lshlrev_b32_e32 v135, 4, v133
	v_lshlrev_b64 v[2:3], 3, v[2:3]
	v_add_co_u32 v0, vcc_lo, s10, v0
	v_add_co_ci_u32_e32 v1, vcc_lo, s11, v1, vcc_lo
	v_and_b32_e32 v41, 1, v33
	v_add_co_u32 v0, vcc_lo, v0, v2
	v_add_co_ci_u32_e32 v1, vcc_lo, v1, v3, vcc_lo
	v_lshlrev_b32_e32 v139, 4, v49
	v_add_co_u32 v2, vcc_lo, v0, s6
	v_add_co_ci_u32_e32 v3, vcc_lo, s1, v1, vcc_lo
	v_lshlrev_b32_e32 v138, 4, v32
	v_add_co_u32 v9, vcc_lo, v2, s9
	v_add_co_ci_u32_e32 v10, vcc_lo, s0, v3, vcc_lo
	s_clause 0x1
	global_load_dwordx2 v[0:1], v[0:1], off
	global_load_dwordx2 v[2:3], v[2:3], off
	v_add_co_u32 v11, vcc_lo, v9, s6
	v_add_co_ci_u32_e32 v12, vcc_lo, s1, v10, vcc_lo
	global_load_dwordx2 v[9:10], v[9:10], off
	v_add_co_u32 v13, vcc_lo, v11, s9
	v_add_co_ci_u32_e32 v14, vcc_lo, s0, v12, vcc_lo
	v_lshlrev_b32_e32 v140, 4, v33
	v_add_co_u32 v15, vcc_lo, v13, s6
	v_add_co_ci_u32_e32 v16, vcc_lo, s1, v14, vcc_lo
	s_clause 0x1
	global_load_dwordx2 v[11:12], v[11:12], off
	global_load_dwordx2 v[13:14], v[13:14], off
	v_add_co_u32 v17, vcc_lo, v15, s9
	v_add_co_ci_u32_e32 v18, vcc_lo, s0, v16, vcc_lo
	global_load_dwordx2 v[15:16], v[15:16], off
	v_add_co_u32 v19, vcc_lo, v17, s6
	v_add_co_ci_u32_e32 v20, vcc_lo, s1, v18, vcc_lo
	;; [unrolled: 3-line block ×6, first 2 shown]
	global_load_dwordx2 v[113:114], v[4:5], off offset:472
	global_load_dwordx2 v[4:5], v[25:26], off
	global_load_dwordx2 v[115:116], v[7:8], off offset:1448
	global_load_dwordx2 v[6:7], v[27:28], off
	s_load_dwordx4 s[8:11], s[2:3], 0x0
	v_lshlrev_b32_e32 v40, 3, v31
	v_lshlrev_b32_e32 v39, 3, v30
	;; [unrolled: 1-line block ×3, first 2 shown]
	v_add_nc_u32_e32 v162, 0x1f8, v30
	v_and_b32_e32 v44, 0xff, v32
	v_and_b32_e32 v45, 0xff, v33
	v_cmp_gt_u16_e32 vcc_lo, 36, v48
	s_load_dwordx2 s[2:3], s[4:5], 0x38
	s_waitcnt vmcnt(13)
	v_mul_f32_e32 v25, v1, v102
	v_mul_f32_e32 v26, v0, v102
	s_waitcnt vmcnt(12)
	v_mul_f32_e32 v27, v2, v122
	v_fmac_f32_e32 v25, v0, v101
	v_mul_f32_e32 v0, v3, v122
	s_waitcnt vmcnt(11)
	v_mul_f32_e32 v8, v10, v104
	v_mul_f32_e32 v28, v9, v104
	v_fma_f32 v26, v1, v101, -v26
	v_fma_f32 v1, v3, v121, -v27
	v_fmac_f32_e32 v0, v2, v121
	v_fmac_f32_e32 v8, v9, v103
	v_fma_f32 v9, v10, v103, -v28
	s_waitcnt vmcnt(10)
	v_mul_f32_e32 v2, v12, v120
	v_mul_f32_e32 v3, v11, v120
	ds_write_b64 v134, v[0:1] offset:3024
	s_waitcnt vmcnt(9)
	v_mul_f32_e32 v0, v14, v106
	v_mul_f32_e32 v1, v13, v106
	ds_write2_b64 v134, v[25:26], v[8:9] offset1:63
	s_waitcnt vmcnt(8)
	v_mul_f32_e32 v9, v15, v118
	v_fmac_f32_e32 v2, v11, v119
	v_fma_f32 v3, v12, v119, -v3
	v_mul_f32_e32 v8, v16, v118
	v_fmac_f32_e32 v0, v13, v105
	s_waitcnt vmcnt(7)
	v_mul_f32_e32 v10, v18, v100
	v_mul_f32_e32 v11, v17, v100
	v_fma_f32 v1, v14, v105, -v1
	v_fma_f32 v9, v16, v117, -v9
	v_fmac_f32_e32 v8, v15, v117
	s_waitcnt vmcnt(6)
	v_mul_f32_e32 v12, v20, v112
	v_mul_f32_e32 v13, v19, v112
	v_fmac_f32_e32 v10, v17, v99
	v_fma_f32 v11, v18, v99, -v11
	s_waitcnt vmcnt(5)
	v_mul_f32_e32 v14, v22, v110
	v_mul_f32_e32 v15, v21, v110
	v_fmac_f32_e32 v12, v19, v111
	v_fma_f32 v13, v20, v111, -v13
	s_waitcnt vmcnt(4)
	v_mul_f32_e32 v16, v24, v108
	v_mul_f32_e32 v17, v23, v108
	v_fmac_f32_e32 v14, v21, v109
	s_waitcnt vmcnt(2)
	v_mul_f32_e32 v18, v5, v114
	v_mul_f32_e32 v19, v4, v114
	s_waitcnt vmcnt(0)
	v_mul_f32_e32 v20, v7, v116
	v_mul_f32_e32 v21, v6, v116
	v_fmac_f32_e32 v16, v23, v107
	v_fma_f32 v17, v24, v107, -v17
	v_fma_f32 v15, v22, v109, -v15
	v_fmac_f32_e32 v18, v4, v113
	v_fma_f32 v19, v5, v113, -v19
	v_fmac_f32_e32 v20, v6, v115
	v_fma_f32 v21, v7, v115, -v21
	ds_write2_b64 v50, v[2:3], v[8:9] offset0:185 offset1:248
	ds_write2_b64 v134, v[0:1], v[10:11] offset0:126 offset1:189
	;; [unrolled: 1-line block ×4, first 2 shown]
	ds_write_b64 v134, v[20:21] offset:5544
	s_waitcnt lgkmcnt(0)
	s_barrier
	buffer_gl0_inv
	ds_read2_b64 v[0:3], v134 offset1:63
	ds_read2_b64 v[4:7], v50 offset0:122 offset1:185
	ds_read2_b64 v[8:11], v134 offset0:126 offset1:189
	;; [unrolled: 1-line block ×5, first 2 shown]
	s_waitcnt lgkmcnt(0)
	s_barrier
	buffer_gl0_inv
	v_sub_f32_e32 v24, v0, v4
	v_sub_f32_e32 v25, v1, v5
	;; [unrolled: 1-line block ×12, first 2 shown]
	v_fma_f32 v22, v0, 2.0, -v24
	v_fma_f32 v23, v1, 2.0, -v25
	v_fma_f32 v2, v2, 2.0, -v4
	v_fma_f32 v3, v3, 2.0, -v5
	v_fma_f32 v26, v8, 2.0, -v28
	v_fma_f32 v27, v9, 2.0, -v29
	v_fma_f32 v10, v10, 2.0, -v12
	v_fma_f32 v11, v11, 2.0, -v13
	v_fma_f32 v34, v16, 2.0, -v36
	v_fma_f32 v35, v17, 2.0, -v37
	v_fma_f32 v18, v18, 2.0, -v20
	v_fma_f32 v19, v19, 2.0, -v21
	ds_write_b128 v135, v[22:25]
	ds_write_b128 v139, v[2:5]
	;; [unrolled: 1-line block ×4, first 2 shown]
	ds_write_b128 v39, v[34:37] offset:4032
	ds_write_b128 v135, v[18:21] offset:5040
	v_lshlrev_b32_e32 v0, 3, v41
	v_and_b32_e32 v4, 1, v49
	s_waitcnt lgkmcnt(0)
	s_barrier
	buffer_gl0_inv
	s_clause 0x2
	global_load_dwordx2 v[123:124], v40, s[14:15]
	global_load_dwordx2 v[125:126], v42, s[14:15]
	;; [unrolled: 1-line block ×3, first 2 shown]
	v_lshlrev_b32_e32 v0, 3, v4
	s_clause 0x1
	global_load_dword v137, v42, s[14:15] offset:4
	global_load_dword v136, v0, s[14:15]
	v_and_or_b32 v0, 0x7c, v30, v31
	v_lshlrev_b32_e32 v5, 1, v49
	v_lshlrev_b32_e32 v6, 1, v32
	v_lshlrev_b32_e32 v7, 1, v33
	v_lshlrev_b32_e32 v8, 1, v161
	v_lshlrev_b32_e32 v144, 3, v0
	ds_read2_b64 v[0:3], v50 offset0:122 offset1:185
	v_and_or_b32 v12, 0xfc, v5, v4
	v_and_or_b32 v13, 0x1fc, v6, v31
	;; [unrolled: 1-line block ×3, first 2 shown]
	ds_read2_b64 v[4:7], v147 offset0:120 offset1:183
	v_and_or_b32 v16, 0x2fc, v8, v38
	ds_read2_b64 v[8:11], v51 offset0:118 offset1:181
	v_and_or_b32 v15, 0x3fc, v162, v31
	v_lshlrev_b32_e32 v146, 3, v12
	v_lshlrev_b32_e32 v145, 3, v13
	;; [unrolled: 1-line block ×5, first 2 shown]
	ds_read2_b64 v[12:15], v134 offset1:63
	ds_read2_b64 v[16:19], v134 offset0:126 offset1:189
	ds_read2_b64 v[20:23], v148 offset0:124 offset1:187
	v_and_b32_e32 v24, 3, v133
	v_and_b32_e32 v26, 3, v49
	;; [unrolled: 1-line block ×4, first 2 shown]
	s_waitcnt vmcnt(0) lgkmcnt(0)
	v_lshlrev_b32_e32 v25, 4, v24
	v_lshlrev_b32_e32 v29, 4, v26
	s_barrier
	buffer_gl0_inv
	v_mul_f32_e32 v30, v1, v124
	v_mul_f32_e32 v31, v0, v124
	;; [unrolled: 1-line block ×12, first 2 shown]
	v_fma_f32 v0, v0, v123, -v30
	v_fmac_f32_e32 v31, v1, v123
	v_fma_f32 v2, v2, v136, -v34
	v_fmac_f32_e32 v35, v3, v136
	;; [unrolled: 2-line block ×6, first 2 shown]
	v_sub_f32_e32 v0, v12, v0
	v_sub_f32_e32 v1, v13, v31
	;; [unrolled: 1-line block ×12, first 2 shown]
	v_fma_f32 v12, v12, 2.0, -v0
	v_fma_f32 v13, v13, 2.0, -v1
	;; [unrolled: 1-line block ×12, first 2 shown]
	ds_write2_b64 v144, v[12:13], v[0:1] offset1:2
	ds_write2_b64 v146, v[14:15], v[2:3] offset1:2
	;; [unrolled: 1-line block ×6, first 2 shown]
	s_waitcnt lgkmcnt(0)
	s_barrier
	buffer_gl0_inv
	s_clause 0x1
	global_load_dwordx4 v[12:15], v25, s[14:15] offset:16
	global_load_dwordx4 v[8:11], v29, s[14:15] offset:16
	v_lshlrev_b32_e32 v0, 4, v27
	v_lshlrev_b32_e32 v1, 4, v28
	s_clause 0x1
	global_load_dwordx4 v[4:7], v0, s[14:15] offset:16
	global_load_dwordx4 v[0:3], v1, s[14:15] offset:16
	v_and_b32_e32 v16, 0xff, v48
	v_lshrrev_b32_e32 v17, 2, v133
	v_lshrrev_b32_e32 v18, 2, v49
	;; [unrolled: 1-line block ×4, first 2 shown]
	v_mul_lo_u16 v16, 0xab, v16
	v_mul_u32_u24_e32 v17, 12, v17
	v_and_b32_e32 v43, 0xff, v49
	v_mul_lo_u16 v22, 0xab, v44
	v_mul_lo_u16 v23, 0xab, v45
	v_lshrrev_b16 v42, 11, v16
	v_or_b32_e32 v16, v17, v24
	v_mul_u32_u24_e32 v17, 12, v18
	v_mul_u32_u24_e32 v18, 12, v19
	;; [unrolled: 1-line block ×3, first 2 shown]
	v_mul_lo_u16 v20, 0xab, v43
	v_lshrrev_b16 v53, 11, v22
	v_mul_lo_u16 v21, v42, 12
	v_lshrrev_b16 v54, 11, v23
	v_lshlrev_b32_e32 v151, 3, v16
	v_lshrrev_b16 v52, 11, v20
	v_mul_lo_u16 v25, v53, 12
	v_or_b32_e32 v16, v17, v26
	v_or_b32_e32 v17, v18, v27
	v_or_b32_e32 v18, v19, v28
	v_mul_lo_u16 v20, v52, 12
	v_sub_nc_u16 v24, v48, v21
	v_mul_lo_u16 v26, v54, 12
	v_sub_nc_u16 v29, v32, v25
	v_lshlrev_b32_e32 v152, 3, v16
	v_sub_nc_u16 v28, v49, v20
	v_lshlrev_b32_e32 v150, 3, v17
	v_lshlrev_b32_e32 v149, 3, v18
	ds_read2_b64 v[16:19], v148 offset0:124 offset1:187
	ds_read2_b64 v[20:23], v147 offset0:120 offset1:183
	v_and_b32_e32 v55, 0xff, v24
	v_sub_nc_u16 v34, v33, v26
	ds_read2_b64 v[24:27], v50 offset0:122 offset1:185
	v_and_b32_e32 v56, 0xff, v28
	v_and_b32_e32 v57, 0xff, v29
	ds_read2_b64 v[28:31], v51 offset0:118 offset1:181
	v_and_b32_e32 v58, 0xff, v34
	ds_read2_b64 v[34:37], v134 offset1:63
	ds_read2_b64 v[38:41], v134 offset0:126 offset1:189
	v_lshlrev_b32_e32 v46, 4, v55
	v_lshlrev_b32_e32 v47, 4, v56
	s_waitcnt vmcnt(0) lgkmcnt(0)
	s_barrier
	buffer_gl0_inv
	v_mul_f32_e32 v59, v17, v13
	v_mul_f32_e32 v60, v16, v13
	;; [unrolled: 1-line block ×16, first 2 shown]
	v_fma_f32 v16, v16, v12, -v59
	v_fmac_f32_e32 v60, v17, v12
	v_fma_f32 v17, v18, v8, -v61
	v_fma_f32 v18, v20, v14, -v63
	v_fmac_f32_e32 v64, v21, v14
	v_fmac_f32_e32 v62, v19, v8
	v_fma_f32 v20, v22, v10, -v65
	v_fmac_f32_e32 v66, v23, v10
	v_fma_f32 v19, v24, v4, -v67
	;; [unrolled: 2-line block ×5, first 2 shown]
	v_fmac_f32_e32 v74, v31, v2
	v_add_f32_e32 v24, v60, v64
	v_add_f32_e32 v25, v34, v16
	;; [unrolled: 1-line block ×8, first 2 shown]
	v_sub_f32_e32 v30, v60, v64
	v_sub_f32_e32 v31, v16, v18
	v_add_f32_e32 v28, v37, v62
	v_add_f32_e32 v63, v39, v68
	v_sub_f32_e32 v65, v68, v72
	v_add_f32_e32 v68, v38, v19
	v_sub_f32_e32 v71, v19, v22
	;; [unrolled: 2-line block ×3, first 2 shown]
	v_add_f32_e32 v70, v70, v74
	v_add_f32_e32 v77, v21, v26
	;; [unrolled: 1-line block ×3, first 2 shown]
	v_fma_f32 v18, -0.5, v27, v34
	v_fma_f32 v19, -0.5, v24, v35
	v_sub_f32_e32 v59, v62, v66
	v_add_f32_e32 v60, v36, v17
	v_sub_f32_e32 v62, v17, v20
	v_fma_f32 v36, -0.5, v61, v36
	v_fmac_f32_e32 v37, -0.5, v29
	v_fma_f32 v24, -0.5, v69, v38
	v_fma_f32 v25, -0.5, v67, v39
	v_add_f32_e32 v76, v40, v21
	v_sub_f32_e32 v78, v21, v26
	v_add_f32_e32 v17, v23, v64
	v_add_f32_e32 v21, v28, v66
	v_fma_f32 v40, -0.5, v77, v40
	v_fmac_f32_e32 v41, -0.5, v70
	v_fmamk_f32 v28, v30, 0x3f5db3d7, v18
	v_fmamk_f32 v29, v31, 0xbf5db3d7, v19
	v_fmac_f32_e32 v18, 0xbf5db3d7, v30
	v_fmac_f32_e32 v19, 0x3f5db3d7, v31
	v_add_f32_e32 v20, v60, v20
	v_fmamk_f32 v30, v59, 0x3f5db3d7, v36
	v_fmamk_f32 v31, v62, 0xbf5db3d7, v37
	v_fmac_f32_e32 v36, 0xbf5db3d7, v59
	v_fmac_f32_e32 v37, 0x3f5db3d7, v62
	v_add_f32_e32 v23, v63, v72
	v_add_f32_e32 v22, v68, v22
	v_fmamk_f32 v34, v65, 0x3f5db3d7, v24
	v_fmamk_f32 v35, v71, 0xbf5db3d7, v25
	v_add_f32_e32 v27, v73, v74
	v_add_f32_e32 v26, v76, v26
	v_fmac_f32_e32 v24, 0xbf5db3d7, v65
	v_fmac_f32_e32 v25, 0x3f5db3d7, v71
	v_fmamk_f32 v38, v75, 0x3f5db3d7, v40
	v_fmamk_f32 v39, v78, 0xbf5db3d7, v41
	v_fmac_f32_e32 v40, 0xbf5db3d7, v75
	v_fmac_f32_e32 v41, 0x3f5db3d7, v78
	ds_write2_b64 v151, v[16:17], v[28:29] offset1:4
	ds_write_b64 v151, v[18:19] offset:64
	ds_write2_b64 v152, v[20:21], v[30:31] offset1:4
	ds_write_b64 v152, v[36:37] offset:64
	;; [unrolled: 2-line block ×4, first 2 shown]
	v_lshlrev_b32_e32 v16, 4, v57
	s_waitcnt lgkmcnt(0)
	s_barrier
	buffer_gl0_inv
	s_clause 0x1
	global_load_dwordx4 v[28:31], v46, s[14:15] offset:80
	global_load_dwordx4 v[24:27], v47, s[14:15] offset:80
	v_lshlrev_b32_e32 v17, 4, v58
	s_clause 0x1
	global_load_dwordx4 v[20:23], v16, s[14:15] offset:80
	global_load_dwordx4 v[16:19], v17, s[14:15] offset:80
	v_add_co_u32 v34, s0, 0xffffffdc, v133
	v_add_co_ci_u32_e64 v35, null, 0, -1, s0
	v_mul_lo_u16 v38, v43, 57
	v_cndmask_b32_e32 v64, v34, v133, vcc_lo
	v_mul_lo_u16 v39, v44, 57
	v_cndmask_b32_e64 v65, v35, 0, vcc_lo
	v_mul_lo_u16 v40, v45, 57
	v_mov_b32_e32 v36, 36
	v_mul_lo_u16 v37, v42, 36
	v_lshrrev_b16 v66, 11, v39
	v_lshlrev_b64 v[34:35], 4, v[64:65]
	v_lshrrev_b16 v65, 11, v38
	v_lshrrev_b16 v67, 11, v40
	v_and_b32_e32 v42, 0xfc, v37
	v_mul_lo_u16 v39, v66, 36
	v_mul_u32_u24_sdwa v52, v52, v36 dst_sel:DWORD dst_unused:UNUSED_PAD src0_sel:WORD_0 src1_sel:DWORD
	v_mul_lo_u16 v38, v65, 36
	v_mul_lo_u16 v40, v67, 36
	v_add_co_u32 v46, vcc_lo, s14, v34
	v_mul_u32_u24_sdwa v53, v53, v36 dst_sel:DWORD dst_unused:UNUSED_PAD src0_sel:WORD_0 src1_sel:DWORD
	v_sub_nc_u16 v43, v49, v38
	v_add_co_ci_u32_e32 v47, vcc_lo, s15, v35, vcc_lo
	v_mul_u32_u24_sdwa v59, v54, v36 dst_sel:DWORD dst_unused:UNUSED_PAD src0_sel:WORD_0 src1_sel:DWORD
	ds_read2_b64 v[34:37], v148 offset0:124 offset1:187
	v_sub_nc_u16 v32, v32, v39
	v_sub_nc_u16 v33, v33, v40
	ds_read2_b64 v[38:41], v147 offset0:120 offset1:183
	v_add_lshl_u32 v156, v42, v55, 3
	v_and_b32_e32 v68, 0xff, v43
	ds_read2_b64 v[42:45], v50 offset0:122 offset1:185
	v_add_lshl_u32 v155, v52, v56, 3
	v_add_lshl_u32 v154, v53, v57, 3
	ds_read2_b64 v[52:55], v51 offset0:118 offset1:181
	v_add_lshl_u32 v153, v59, v58, 3
	ds_read2_b64 v[56:59], v134 offset1:63
	ds_read2_b64 v[60:63], v134 offset0:126 offset1:189
	v_and_b32_e32 v69, 0xff, v32
	v_and_b32_e32 v70, 0xff, v33
	v_lshlrev_b32_e32 v71, 4, v68
	s_waitcnt vmcnt(0) lgkmcnt(0)
	s_barrier
	buffer_gl0_inv
	v_cmp_lt_u16_e32 vcc_lo, 35, v48
	v_mul_f32_e32 v32, v35, v29
	v_mul_f32_e32 v33, v34, v29
	;; [unrolled: 1-line block ×16, first 2 shown]
	v_fma_f32 v32, v34, v28, -v32
	v_fmac_f32_e32 v33, v35, v28
	v_fma_f32 v35, v38, v30, -v74
	v_fmac_f32_e32 v75, v39, v30
	;; [unrolled: 2-line block ×8, first 2 shown]
	v_add_f32_e32 v41, v33, v75
	v_add_f32_e32 v43, v56, v32
	v_add_f32_e32 v44, v32, v35
	v_add_f32_e32 v45, v59, v73
	v_sub_f32_e32 v54, v73, v77
	v_add_f32_e32 v55, v73, v77
	v_add_f32_e32 v73, v34, v36
	;; [unrolled: 1-line block ×3, first 2 shown]
	v_sub_f32_e32 v78, v79, v83
	v_add_f32_e32 v79, v79, v83
	v_add_f32_e32 v80, v60, v37
	;; [unrolled: 1-line block ×4, first 2 shown]
	v_sub_f32_e32 v52, v33, v75
	v_sub_f32_e32 v53, v32, v35
	v_add_f32_e32 v72, v58, v34
	v_sub_f32_e32 v74, v34, v36
	v_add_f32_e32 v86, v63, v81
	;; [unrolled: 2-line block ×3, first 2 shown]
	v_add_f32_e32 v89, v38, v42
	v_add_f32_e32 v32, v43, v35
	v_fma_f32 v34, -0.5, v44, v56
	v_fma_f32 v35, -0.5, v41, v57
	v_fma_f32 v58, -0.5, v73, v58
	v_fmac_f32_e32 v59, -0.5, v55
	v_sub_f32_e32 v84, v37, v40
	v_add_f32_e32 v88, v62, v38
	v_sub_f32_e32 v90, v38, v42
	v_add_f32_e32 v38, v80, v40
	v_fma_f32 v40, -0.5, v82, v60
	v_fma_f32 v41, -0.5, v79, v61
	v_add_f32_e32 v33, v39, v75
	v_add_f32_e32 v37, v45, v77
	v_fma_f32 v62, -0.5, v89, v62
	v_fmac_f32_e32 v63, -0.5, v81
	v_fmamk_f32 v44, v52, 0x3f5db3d7, v34
	v_fmamk_f32 v45, v53, 0xbf5db3d7, v35
	v_fmac_f32_e32 v34, 0xbf5db3d7, v52
	v_fmac_f32_e32 v35, 0x3f5db3d7, v53
	v_add_f32_e32 v36, v72, v36
	v_fmamk_f32 v52, v54, 0x3f5db3d7, v58
	v_fmamk_f32 v53, v74, 0xbf5db3d7, v59
	v_fmac_f32_e32 v58, 0xbf5db3d7, v54
	v_fmac_f32_e32 v59, 0x3f5db3d7, v74
	v_add_f32_e32 v39, v76, v83
	v_fmamk_f32 v54, v78, 0x3f5db3d7, v40
	v_fmamk_f32 v55, v84, 0xbf5db3d7, v41
	v_add_f32_e32 v43, v86, v85
	v_add_f32_e32 v42, v88, v42
	v_fmac_f32_e32 v40, 0xbf5db3d7, v78
	v_fmac_f32_e32 v41, 0x3f5db3d7, v84
	v_fmamk_f32 v56, v87, 0x3f5db3d7, v62
	v_fmamk_f32 v57, v90, 0xbf5db3d7, v63
	v_fmac_f32_e32 v62, 0xbf5db3d7, v87
	v_fmac_f32_e32 v63, 0x3f5db3d7, v90
	ds_write2_b64 v156, v[32:33], v[44:45] offset1:12
	ds_write_b64 v156, v[34:35] offset:192
	ds_write2_b64 v155, v[36:37], v[52:53] offset1:12
	ds_write_b64 v155, v[58:59] offset:192
	;; [unrolled: 2-line block ×4, first 2 shown]
	v_lshlrev_b32_e32 v32, 4, v69
	s_waitcnt lgkmcnt(0)
	s_barrier
	buffer_gl0_inv
	s_clause 0x1
	global_load_dwordx4 v[44:47], v[46:47], off offset:272
	global_load_dwordx4 v[40:43], v71, s[14:15] offset:272
	v_lshlrev_b32_e32 v33, 4, v70
	s_clause 0x1
	global_load_dwordx4 v[36:39], v32, s[14:15] offset:272
	global_load_dwordx4 v[32:35], v33, s[14:15] offset:272
	v_mov_b32_e32 v71, 0x6c
	v_cndmask_b32_e64 v72, 0, 0x6c, vcc_lo
	ds_read2_b64 v[52:55], v148 offset0:124 offset1:187
	ds_read2_b64 v[56:59], v147 offset0:120 offset1:183
	;; [unrolled: 1-line block ×3, first 2 shown]
	v_mul_u32_u24_sdwa v65, v65, v71 dst_sel:DWORD dst_unused:UNUSED_PAD src0_sel:WORD_0 src1_sel:DWORD
	v_mul_u32_u24_sdwa v73, v66, v71 dst_sel:DWORD dst_unused:UNUSED_PAD src0_sel:WORD_0 src1_sel:DWORD
	;; [unrolled: 1-line block ×3, first 2 shown]
	v_add_lshl_u32 v160, v64, v72, 3
	v_cmp_gt_u16_e32 vcc_lo, 45, v48
	v_add_lshl_u32 v159, v65, v68, 3
	ds_read2_b64 v[64:67], v51 offset0:118 offset1:181
	v_add_lshl_u32 v158, v73, v69, 3
	v_add_lshl_u32 v157, v71, v70, 3
	ds_read2_b64 v[68:71], v134 offset1:63
	ds_read2_b64 v[74:77], v134 offset0:126 offset1:189
	s_waitcnt vmcnt(0) lgkmcnt(0)
	s_barrier
	buffer_gl0_inv
	v_mul_f32_e32 v51, v53, v45
	v_mul_f32_e32 v72, v52, v45
	;; [unrolled: 1-line block ×16, first 2 shown]
	v_fma_f32 v51, v52, v44, -v51
	v_fmac_f32_e32 v72, v53, v44
	v_fma_f32 v53, v56, v46, -v79
	v_fmac_f32_e32 v80, v57, v46
	;; [unrolled: 2-line block ×8, first 2 shown]
	v_add_f32_e32 v60, v72, v80
	v_add_f32_e32 v62, v68, v51
	;; [unrolled: 1-line block ×8, first 2 shown]
	v_sub_f32_e32 v61, v72, v80
	v_sub_f32_e32 v64, v51, v53
	v_add_f32_e32 v65, v71, v78
	v_add_f32_e32 v79, v75, v84
	v_sub_f32_e32 v81, v84, v88
	v_add_f32_e32 v84, v74, v54
	v_sub_f32_e32 v87, v54, v57
	v_sub_f32_e32 v89, v86, v90
	v_add_f32_e32 v91, v77, v86
	v_add_f32_e32 v86, v86, v90
	;; [unrolled: 1-line block ×5, first 2 shown]
	v_fma_f32 v53, -0.5, v63, v68
	v_fma_f32 v54, -0.5, v60, v69
	v_sub_f32_e32 v66, v78, v82
	v_add_f32_e32 v72, v70, v52
	v_sub_f32_e32 v78, v52, v55
	v_fma_f32 v70, -0.5, v73, v70
	v_fmac_f32_e32 v71, -0.5, v67
	v_fma_f32 v74, -0.5, v85, v74
	v_fma_f32 v75, -0.5, v83, v75
	v_sub_f32_e32 v94, v56, v59
	v_add_f32_e32 v52, v58, v80
	v_add_f32_e32 v56, v65, v82
	;; [unrolled: 1-line block ×3, first 2 shown]
	v_fma_f32 v76, -0.5, v93, v76
	v_fmac_f32_e32 v77, -0.5, v86
	v_fmamk_f32 v59, v61, 0x3f5db3d7, v53
	v_fmamk_f32 v60, v64, 0xbf5db3d7, v54
	v_fmac_f32_e32 v53, 0xbf5db3d7, v61
	v_fmac_f32_e32 v54, 0x3f5db3d7, v64
	v_add_f32_e32 v55, v72, v55
	v_fmamk_f32 v61, v66, 0x3f5db3d7, v70
	v_fmamk_f32 v62, v78, 0xbf5db3d7, v71
	v_fmac_f32_e32 v70, 0xbf5db3d7, v66
	v_fmac_f32_e32 v71, 0x3f5db3d7, v78
	v_add_f32_e32 v58, v79, v88
	v_add_f32_e32 v57, v84, v57
	v_fmamk_f32 v72, v81, 0x3f5db3d7, v74
	v_fmamk_f32 v73, v87, 0xbf5db3d7, v75
	v_add_f32_e32 v83, v91, v90
	v_fmac_f32_e32 v74, 0xbf5db3d7, v81
	v_fmac_f32_e32 v75, 0x3f5db3d7, v87
	v_fmamk_f32 v84, v89, 0x3f5db3d7, v76
	v_fmac_f32_e32 v76, 0xbf5db3d7, v89
	v_fmamk_f32 v85, v94, 0xbf5db3d7, v77
	v_fmac_f32_e32 v77, 0x3f5db3d7, v94
	ds_write2_b64 v160, v[51:52], v[59:60] offset1:36
	ds_write_b64 v160, v[53:54] offset:576
	ds_write2_b64 v159, v[55:56], v[61:62] offset1:36
	ds_write_b64 v159, v[70:71] offset:576
	ds_write2_b64 v158, v[57:58], v[72:73] offset1:36
	ds_write_b64 v158, v[74:75] offset:576
	ds_write2_b64 v157, v[82:83], v[84:85] offset1:36
	ds_write_b64 v157, v[76:77] offset:576
	s_waitcnt lgkmcnt(0)
	s_barrier
	buffer_gl0_inv
	ds_read_b64 v[131:132], v134 offset:5184
	ds_read2_b64 v[78:81], v134 offset1:108
	ds_read2_b64 v[94:97], v148 offset0:88 offset1:196
	ds_read2_b64 v[90:93], v147 offset0:48 offset1:156
                                        ; implicit-def: $vgpr88
	s_and_saveexec_b32 s0, vcc_lo
	s_cbranch_execz .LBB0_3
; %bb.2:
	ds_read2_b64 v[86:89], v147 offset0:111 offset1:219
	ds_read2_b64 v[72:75], v134 offset0:63 offset1:171
	;; [unrolled: 1-line block ×3, first 2 shown]
	ds_read_b64 v[129:130], v134 offset:5688
	s_waitcnt lgkmcnt(3)
	v_mov_b32_e32 v76, v86
	v_mov_b32_e32 v77, v87
.LBB0_3:
	s_or_b32 exec_lo, exec_lo, s0
	v_subrev_nc_u32_e32 v48, 45, v133
	v_mad_u64_u32 v[50:51], null, v133, 48, s[14:15]
	v_lshlrev_b32_e32 v87, 3, v162
	v_lshlrev_b32_e32 v86, 4, v161
	v_cndmask_b32_e32 v48, v48, v49, vcc_lo
	s_clause 0x2
	global_load_dwordx4 v[68:71], v[50:51], off offset:848
	global_load_dwordx4 v[64:67], v[50:51], off offset:864
	;; [unrolled: 1-line block ×3, first 2 shown]
	v_mul_i32_i24_e32 v49, 48, v48
	v_mul_hi_i32_i24_e32 v48, 48, v48
	v_add_co_u32 v56, s0, s14, v49
	v_add_co_ci_u32_e64 v57, s0, s15, v48, s0
	s_clause 0x2
	global_load_dwordx4 v[52:55], v[56:57], off offset:848
	global_load_dwordx4 v[48:51], v[56:57], off offset:864
	;; [unrolled: 1-line block ×3, first 2 shown]
	s_waitcnt vmcnt(5) lgkmcnt(2)
	v_mul_f32_e32 v161, v81, v69
	v_mul_f32_e32 v162, v80, v69
	s_waitcnt lgkmcnt(1)
	v_mul_f32_e32 v163, v95, v71
	v_mul_f32_e32 v164, v94, v71
	s_waitcnt vmcnt(4)
	v_mul_f32_e32 v165, v97, v65
	v_mul_f32_e32 v166, v96, v65
	s_waitcnt lgkmcnt(0)
	v_mul_f32_e32 v167, v91, v67
	v_mul_f32_e32 v168, v90, v67
	s_waitcnt vmcnt(3)
	v_mul_f32_e32 v169, v93, v61
	v_mul_f32_e32 v170, v92, v61
	;; [unrolled: 1-line block ×4, first 2 shown]
	v_fma_f32 v80, v80, v68, -v161
	v_fmac_f32_e32 v162, v81, v68
	v_fma_f32 v81, v94, v70, -v163
	v_fmac_f32_e32 v164, v95, v70
	;; [unrolled: 2-line block ×3, first 2 shown]
	v_fma_f32 v90, v90, v66, -v167
	v_fma_f32 v95, v131, v62, -v171
	v_fmac_f32_e32 v172, v132, v62
	v_fmac_f32_e32 v168, v91, v66
	v_fma_f32 v91, v92, v60, -v169
	v_fmac_f32_e32 v170, v93, v60
	v_add_f32_e32 v92, v80, v95
	v_add_f32_e32 v93, v162, v172
	v_sub_f32_e32 v80, v80, v95
	v_sub_f32_e32 v95, v162, v172
	v_add_f32_e32 v96, v81, v91
	v_add_f32_e32 v97, v164, v170
	v_sub_f32_e32 v81, v81, v91
	v_sub_f32_e32 v91, v164, v170
	;; [unrolled: 4-line block ×3, first 2 shown]
	s_waitcnt vmcnt(2)
	v_mul_f32_e32 v161, v75, v53
	v_mul_f32_e32 v162, v74, v53
	;; [unrolled: 1-line block ×4, first 2 shown]
	s_waitcnt vmcnt(1)
	v_mul_f32_e32 v168, v76, v51
	s_waitcnt vmcnt(0)
	v_mul_f32_e32 v169, v89, v57
	v_mul_f32_e32 v170, v88, v57
	;; [unrolled: 1-line block ×7, first 2 shown]
	v_add_f32_e32 v173, v96, v92
	v_add_f32_e32 v174, v97, v93
	;; [unrolled: 1-line block ×3, first 2 shown]
	v_sub_f32_e32 v179, v90, v81
	v_sub_f32_e32 v180, v94, v91
	;; [unrolled: 1-line block ×3, first 2 shown]
	v_fma_f32 v74, v74, v52, -v161
	v_fmac_f32_e32 v162, v75, v52
	v_fma_f32 v75, v82, v54, -v163
	v_fmac_f32_e32 v164, v83, v54
	v_fmac_f32_e32 v168, v77, v50
	v_fma_f32 v77, v88, v56, -v169
	v_fmac_f32_e32 v170, v89, v56
	v_fma_f32 v83, v129, v58, -v171
	v_fmac_f32_e32 v172, v130, v58
	v_sub_f32_e32 v175, v96, v92
	v_sub_f32_e32 v176, v97, v93
	;; [unrolled: 1-line block ×6, first 2 shown]
	v_add_f32_e32 v178, v94, v91
	v_sub_f32_e32 v90, v80, v90
	v_sub_f32_e32 v94, v95, v94
	;; [unrolled: 1-line block ×3, first 2 shown]
	v_fma_f32 v82, v84, v48, -v165
	v_fmac_f32_e32 v166, v85, v48
	v_fma_f32 v76, v76, v50, -v167
	v_add_f32_e32 v84, v131, v173
	v_add_f32_e32 v85, v132, v174
	v_mul_f32_e32 v129, 0xbf08b237, v179
	v_mul_f32_e32 v130, 0xbf08b237, v180
	;; [unrolled: 1-line block ×3, first 2 shown]
	v_add_f32_e32 v165, v74, v83
	v_add_f32_e32 v167, v162, v172
	v_sub_f32_e32 v74, v74, v83
	v_add_f32_e32 v83, v75, v77
	v_add_f32_e32 v169, v164, v170
	;; [unrolled: 1-line block ×4, first 2 shown]
	v_mul_f32_e32 v80, 0x3f4a47b2, v92
	v_mul_f32_e32 v92, 0x3f4a47b2, v93
	;; [unrolled: 1-line block ×5, first 2 shown]
	v_sub_f32_e32 v162, v162, v172
	v_sub_f32_e32 v75, v75, v77
	;; [unrolled: 1-line block ×3, first 2 shown]
	v_add_f32_e32 v164, v82, v76
	v_add_f32_e32 v170, v166, v168
	v_sub_f32_e32 v76, v76, v82
	v_sub_f32_e32 v82, v168, v166
	v_add_f32_e32 v131, v78, v84
	v_add_f32_e32 v132, v79, v85
	v_fmamk_f32 v172, v90, 0x3eae86e6, v129
	v_fmamk_f32 v171, v94, 0x3eae86e6, v130
	v_fma_f32 v130, 0x3f5ff5aa, v91, -v130
	v_fma_f32 v173, 0xbeae86e6, v90, -v161
	v_add_f32_e32 v90, v83, v165
	v_add_f32_e32 v91, v169, v167
	v_fmamk_f32 v96, v96, 0x3d64c772, v80
	v_fmamk_f32 v97, v97, 0x3d64c772, v92
	v_fma_f32 v93, 0x3f3bfb3b, v175, -v93
	v_fma_f32 v95, 0x3f3bfb3b, v176, -v95
	;; [unrolled: 1-line block ×6, first 2 shown]
	v_sub_f32_e32 v78, v83, v165
	v_sub_f32_e32 v79, v169, v167
	;; [unrolled: 1-line block ×5, first 2 shown]
	v_add_f32_e32 v83, v76, v75
	v_add_f32_e32 v165, v82, v77
	v_sub_f32_e32 v167, v76, v75
	v_sub_f32_e32 v168, v82, v77
	;; [unrolled: 1-line block ×4, first 2 shown]
	v_fmamk_f32 v174, v84, 0xbf955555, v131
	v_fmamk_f32 v175, v85, 0xbf955555, v132
	v_add_f32_e32 v176, v164, v90
	v_add_f32_e32 v177, v170, v91
	v_sub_f32_e32 v81, v170, v169
	v_sub_f32_e32 v76, v74, v76
	;; [unrolled: 1-line block ×3, first 2 shown]
	v_fmac_f32_e32 v172, 0x3ee1c552, v88
	v_fmac_f32_e32 v171, 0x3ee1c552, v89
	;; [unrolled: 1-line block ×6, first 2 shown]
	v_add_f32_e32 v83, v83, v74
	v_mul_f32_e32 v74, 0x3f4a47b2, v161
	v_mul_f32_e32 v90, 0x3f4a47b2, v163
	v_mul_f32_e32 v85, 0xbf08b237, v167
	v_mul_f32_e32 v82, 0xbf08b237, v168
	v_mul_f32_e32 v89, 0x3f5ff5aa, v75
	v_mul_f32_e32 v88, 0x3f5ff5aa, v77
	v_add_f32_e32 v77, v97, v175
	v_add_f32_e32 v95, v95, v175
	;; [unrolled: 1-line block ×9, first 2 shown]
	v_fmamk_f32 v174, v80, 0x3d64c772, v74
	v_fmamk_f32 v175, v81, 0x3d64c772, v90
	v_fma_f32 v74, 0xbf3bfb3b, v78, -v74
	v_fma_f32 v178, 0xbf3bfb3b, v79, -v90
	v_fmamk_f32 v90, v76, 0x3eae86e6, v85
	v_fmamk_f32 v91, v169, 0x3eae86e6, v82
	v_fma_f32 v92, 0xbeae86e6, v76, -v89
	v_fma_f32 v93, 0xbeae86e6, v169, -v88
	v_add_f32_e32 v163, v94, v97
	v_add_f32_e32 v166, v129, v95
	v_sub_f32_e32 v168, v95, v129
	v_sub_f32_e32 v169, v97, v94
	v_fmamk_f32 v94, v176, 0xbf955555, v72
	v_fmamk_f32 v95, v177, 0xbf955555, v73
	v_sub_f32_e32 v165, v96, v130
	v_add_f32_e32 v167, v130, v96
	v_fmac_f32_e32 v90, 0x3ee1c552, v83
	v_fmac_f32_e32 v91, 0x3ee1c552, v84
	;; [unrolled: 1-line block ×4, first 2 shown]
	v_add_f32_e32 v97, v74, v94
	v_add_f32_e32 v130, v178, v95
	;; [unrolled: 1-line block ×5, first 2 shown]
	v_sub_f32_e32 v162, v77, v172
	v_sub_f32_e32 v171, v75, v171
	v_add_f32_e32 v172, v172, v77
	v_sub_f32_e32 v74, v97, v93
	v_add_f32_e32 v75, v92, v130
	v_sub_f32_e32 v76, v96, v91
	v_add_f32_e32 v77, v90, v129
	v_sub_f32_e32 v164, v170, v173
	v_add_f32_e32 v170, v173, v170
	ds_write2_b64 v134, v[131:132], v[161:162] offset1:108
	ds_write2_b64 v148, v[163:164], v[165:166] offset0:88 offset1:196
	ds_write2_b64 v147, v[167:168], v[169:170] offset0:48 offset1:156
	ds_write_b64 v134, v[171:172] offset:5184
	s_and_saveexec_b32 s0, vcc_lo
	s_cbranch_execz .LBB0_5
; %bb.4:
	v_mul_f32_e32 v81, 0x3d64c772, v81
	v_mul_f32_e32 v79, 0x3f3bfb3b, v79
	;; [unrolled: 1-line block ×6, first 2 shown]
	v_sub_f32_e32 v79, v79, v81
	v_sub_f32_e32 v81, v89, v85
	v_sub_f32_e32 v82, v88, v82
	v_sub_f32_e32 v78, v78, v80
	v_sub_f32_e32 v85, v129, v90
	v_add_f32_e32 v80, v79, v95
	v_add_f32_e32 v81, v83, v81
	;; [unrolled: 1-line block ×5, first 2 shown]
	v_add_nc_u32_e32 v88, 0x800, v134
	v_sub_f32_e32 v79, v80, v81
	v_add_f32_e32 v81, v81, v80
	v_add_f32_e32 v78, v82, v83
	v_sub_f32_e32 v80, v83, v82
	v_sub_f32_e32 v83, v130, v92
	v_add_f32_e32 v82, v93, v97
	v_add_nc_u32_e32 v89, 0xc00, v134
	ds_write2_b64 v134, v[72:73], v[84:85] offset0:63 offset1:171
	ds_write2_b64 v88, v[82:83], v[80:81] offset0:23 offset1:131
	;; [unrolled: 1-line block ×3, first 2 shown]
	ds_write_b64 v134, v[76:77] offset:5688
.LBB0_5:
	s_or_b32 exec_lo, exec_lo, s0
	v_lshlrev_b32_e32 v72, 3, v133
	s_waitcnt lgkmcnt(0)
	s_barrier
	buffer_gl0_inv
	v_add_co_u32 v82, s0, s12, v72
	v_add_co_ci_u32_e64 v85, null, s13, 0, s0
	v_add_co_u32 v72, s0, 0x1000, v82
	v_add_co_ci_u32_e64 v73, s0, 0, v85, s0
	v_add_co_u32 v78, s0, 0x17a0, v82
	v_add_co_ci_u32_e64 v79, s0, 0, v85, s0
	global_load_dwordx2 v[72:73], v[72:73], off offset:1952
	v_add_co_u32 v80, s0, 0x2000, v82
	global_load_dwordx2 v[83:84], v[78:79], off offset:504
	v_add_co_ci_u32_e64 v81, s0, 0, v85, s0
	s_clause 0x2
	global_load_dwordx2 v[96:97], v[80:81], off offset:880
	global_load_dwordx2 v[147:148], v[80:81], off offset:1384
	;; [unrolled: 1-line block ×3, first 2 shown]
	v_add_co_u32 v88, s0, 0x2800, v82
	v_add_co_ci_u32_e64 v89, s0, 0, v85, s0
	s_clause 0x6
	global_load_dwordx2 v[171:172], v[80:81], off offset:1888
	global_load_dwordx2 v[173:174], v[78:79], off offset:1512
	;; [unrolled: 1-line block ×7, first 2 shown]
	ds_read2_b64 v[79:82], v134 offset1:63
	s_waitcnt vmcnt(11) lgkmcnt(0)
	v_mul_f32_e32 v78, v80, v73
	v_mul_f32_e32 v89, v79, v73
	s_waitcnt vmcnt(10)
	v_mul_f32_e32 v73, v82, v84
	v_mul_f32_e32 v85, v81, v84
	v_fma_f32 v88, v79, v72, -v78
	v_fmac_f32_e32 v89, v80, v72
	v_add_nc_u32_e32 v80, 0x800, v134
	v_add_nc_u32_e32 v78, 0xc00, v134
	;; [unrolled: 1-line block ×4, first 2 shown]
	ds_write_b64 v134, v[88:89]
	ds_read2_b64 v[88:91], v80 offset0:122 offset1:185
	ds_read2_b64 v[92:95], v134 offset0:126 offset1:189
	ds_read2_b64 v[129:132], v78 offset0:120 offset1:183
	ds_read2_b64 v[161:164], v79 offset0:124 offset1:187
	ds_read2_b64 v[165:168], v72 offset0:118 offset1:181
	v_fma_f32 v84, v81, v83, -v73
	v_fmac_f32_e32 v85, v82, v83
	s_waitcnt vmcnt(7) lgkmcnt(3)
	v_mul_f32_e32 v185, v93, v170
	v_mul_f32_e32 v73, v89, v97
	;; [unrolled: 1-line block ×6, first 2 shown]
	s_waitcnt vmcnt(6) lgkmcnt(2)
	v_mul_f32_e32 v186, v130, v172
	v_mul_f32_e32 v170, v129, v172
	s_waitcnt vmcnt(5)
	v_mul_f32_e32 v187, v95, v174
	v_mul_f32_e32 v172, v94, v174
	s_waitcnt vmcnt(4)
	v_mul_f32_e32 v188, v132, v176
	v_mul_f32_e32 v174, v131, v176
	s_waitcnt vmcnt(3) lgkmcnt(1)
	v_mul_f32_e32 v189, v162, v178
	v_mul_f32_e32 v176, v161, v178
	s_waitcnt vmcnt(2) lgkmcnt(0)
	v_mul_f32_e32 v190, v166, v180
	v_mul_f32_e32 v178, v165, v180
	s_waitcnt vmcnt(1)
	v_mul_f32_e32 v191, v164, v182
	v_mul_f32_e32 v180, v163, v182
	s_waitcnt vmcnt(0)
	v_mul_f32_e32 v192, v168, v184
	v_mul_f32_e32 v182, v167, v184
	v_fma_f32 v81, v88, v96, -v73
	v_fmac_f32_e32 v82, v89, v96
	v_fma_f32 v96, v90, v147, -v83
	v_fmac_f32_e32 v97, v91, v147
	v_fma_f32 v147, v92, v169, -v185
	v_fmac_f32_e32 v148, v93, v169
	v_fma_f32 v169, v129, v171, -v186
	v_fmac_f32_e32 v170, v130, v171
	v_fma_f32 v171, v94, v173, -v187
	v_fmac_f32_e32 v172, v95, v173
	v_fma_f32 v173, v131, v175, -v188
	v_fmac_f32_e32 v174, v132, v175
	v_fma_f32 v175, v161, v177, -v189
	v_fmac_f32_e32 v176, v162, v177
	v_fma_f32 v177, v165, v179, -v190
	v_fmac_f32_e32 v178, v166, v179
	v_fma_f32 v179, v163, v181, -v191
	v_fmac_f32_e32 v180, v164, v181
	v_fma_f32 v181, v167, v183, -v192
	v_fmac_f32_e32 v182, v168, v183
	ds_write2_b64 v134, v[84:85], v[147:148] offset0:63 offset1:126
	ds_write2_b64 v80, v[96:97], v[169:170] offset0:185 offset1:248
	;; [unrolled: 1-line block ×5, first 2 shown]
	ds_write_b64 v134, v[181:182] offset:5544
	s_waitcnt lgkmcnt(0)
	s_barrier
	buffer_gl0_inv
	ds_read2_b64 v[81:84], v134 offset1:63
	ds_read2_b64 v[88:91], v80 offset0:122 offset1:185
	ds_read2_b64 v[92:95], v134 offset0:126 offset1:189
	;; [unrolled: 1-line block ×5, first 2 shown]
	s_waitcnt lgkmcnt(0)
	s_barrier
	buffer_gl0_inv
	v_sub_f32_e32 v169, v81, v88
	v_sub_f32_e32 v170, v82, v89
	;; [unrolled: 1-line block ×12, first 2 shown]
	v_fma_f32 v167, v81, 2.0, -v169
	v_fma_f32 v168, v82, 2.0, -v170
	;; [unrolled: 1-line block ×12, first 2 shown]
	ds_write_b128 v135, v[167:170]
	ds_write_b128 v139, v[88:91]
	;; [unrolled: 1-line block ×6, first 2 shown]
	s_waitcnt lgkmcnt(0)
	s_barrier
	buffer_gl0_inv
	ds_read2_b64 v[81:84], v80 offset0:122 offset1:185
	ds_read2_b64 v[85:88], v78 offset0:120 offset1:183
	;; [unrolled: 1-line block ×3, first 2 shown]
	ds_read2_b64 v[93:96], v134 offset1:63
	ds_read2_b64 v[129:132], v134 offset0:126 offset1:189
	ds_read2_b64 v[161:164], v79 offset0:124 offset1:187
	s_waitcnt lgkmcnt(0)
	s_barrier
	buffer_gl0_inv
	v_mul_f32_e32 v73, v124, v82
	v_mul_f32_e32 v97, v124, v81
	;; [unrolled: 1-line block ×12, first 2 shown]
	v_fmac_f32_e32 v73, v123, v81
	v_fma_f32 v82, v123, v82, -v97
	v_fmac_f32_e32 v135, v136, v83
	v_fma_f32 v84, v136, v84, -v126
	;; [unrolled: 2-line block ×6, first 2 shown]
	v_sub_f32_e32 v81, v93, v73
	v_sub_f32_e32 v82, v94, v82
	;; [unrolled: 1-line block ×12, first 2 shown]
	v_fma_f32 v93, v93, 2.0, -v81
	v_fma_f32 v94, v94, 2.0, -v82
	;; [unrolled: 1-line block ×12, first 2 shown]
	ds_write2_b64 v144, v[93:94], v[81:82] offset1:2
	ds_write2_b64 v146, v[95:96], v[83:84] offset1:2
	;; [unrolled: 1-line block ×6, first 2 shown]
	s_waitcnt lgkmcnt(0)
	s_barrier
	buffer_gl0_inv
	ds_read2_b64 v[81:84], v79 offset0:124 offset1:187
	ds_read2_b64 v[85:88], v78 offset0:120 offset1:183
	;; [unrolled: 1-line block ×4, first 2 shown]
	ds_read2_b64 v[123:126], v134 offset1:63
	ds_read2_b64 v[127:130], v134 offset0:126 offset1:189
	s_waitcnt lgkmcnt(0)
	s_barrier
	buffer_gl0_inv
	v_mul_f32_e32 v73, v13, v82
	v_mul_f32_e32 v13, v13, v81
	;; [unrolled: 1-line block ×16, first 2 shown]
	v_fmac_f32_e32 v73, v12, v81
	v_fma_f32 v12, v12, v82, -v13
	v_fmac_f32_e32 v97, v14, v85
	v_fma_f32 v13, v14, v86, -v15
	;; [unrolled: 2-line block ×8, first 2 shown]
	v_add_f32_e32 v1, v123, v73
	v_add_f32_e32 v2, v73, v97
	;; [unrolled: 1-line block ×4, first 2 shown]
	v_sub_f32_e32 v14, v12, v13
	v_sub_f32_e32 v15, v73, v97
	v_add_f32_e32 v10, v131, v132
	v_sub_f32_e32 v73, v8, v9
	v_add_f32_e32 v12, v126, v8
	v_add_f32_e32 v8, v8, v9
	;; [unrolled: 1-line block ×6, first 2 shown]
	v_sub_f32_e32 v90, v0, v11
	v_add_f32_e32 v91, v130, v0
	v_add_f32_e32 v0, v1, v97
	v_fma_f32 v2, -0.5, v2, v123
	v_add_f32_e32 v1, v3, v13
	v_fma_f32 v3, -0.5, v5, v124
	v_add_f32_e32 v6, v125, v131
	v_sub_f32_e32 v81, v131, v132
	v_fma_f32 v125, -0.5, v10, v125
	v_fmac_f32_e32 v126, -0.5, v8
	v_add_f32_e32 v82, v127, v135
	v_sub_f32_e32 v84, v4, v7
	v_add_f32_e32 v85, v128, v4
	v_sub_f32_e32 v87, v135, v136
	;; [unrolled: 2-line block ×3, first 2 shown]
	v_add_f32_e32 v5, v12, v9
	v_fma_f32 v8, -0.5, v83, v127
	v_fma_f32 v9, -0.5, v86, v128
	;; [unrolled: 1-line block ×3, first 2 shown]
	v_fmac_f32_e32 v130, -0.5, v92
	v_fmamk_f32 v12, v14, 0xbf5db3d7, v2
	v_fmamk_f32 v13, v15, 0x3f5db3d7, v3
	v_fmac_f32_e32 v2, 0x3f5db3d7, v14
	v_fmac_f32_e32 v3, 0xbf5db3d7, v15
	v_add_f32_e32 v4, v6, v132
	v_fmamk_f32 v14, v73, 0xbf5db3d7, v125
	v_fmamk_f32 v15, v81, 0x3f5db3d7, v126
	v_fmac_f32_e32 v125, 0x3f5db3d7, v73
	v_fmac_f32_e32 v126, 0xbf5db3d7, v81
	v_add_f32_e32 v6, v82, v136
	v_add_f32_e32 v7, v85, v7
	;; [unrolled: 1-line block ×4, first 2 shown]
	v_fmamk_f32 v81, v84, 0xbf5db3d7, v8
	v_fmac_f32_e32 v8, 0x3f5db3d7, v84
	v_fmamk_f32 v82, v87, 0x3f5db3d7, v9
	v_fmac_f32_e32 v9, 0xbf5db3d7, v87
	v_fmamk_f32 v83, v90, 0xbf5db3d7, v129
	v_fmamk_f32 v84, v93, 0x3f5db3d7, v130
	v_fmac_f32_e32 v129, 0x3f5db3d7, v90
	v_fmac_f32_e32 v130, 0xbf5db3d7, v93
	ds_write2_b64 v151, v[0:1], v[12:13] offset1:4
	ds_write_b64 v151, v[2:3] offset:64
	ds_write2_b64 v152, v[4:5], v[14:15] offset1:4
	ds_write_b64 v152, v[125:126] offset:64
	;; [unrolled: 2-line block ×4, first 2 shown]
	s_waitcnt lgkmcnt(0)
	s_barrier
	buffer_gl0_inv
	ds_read2_b64 v[0:3], v79 offset0:124 offset1:187
	ds_read2_b64 v[4:7], v78 offset0:120 offset1:183
	;; [unrolled: 1-line block ×4, first 2 shown]
	ds_read2_b64 v[81:84], v134 offset1:63
	ds_read2_b64 v[85:88], v134 offset0:126 offset1:189
	s_waitcnt lgkmcnt(0)
	s_barrier
	buffer_gl0_inv
	v_mul_f32_e32 v73, v29, v1
	v_mul_f32_e32 v29, v29, v0
	;; [unrolled: 1-line block ×16, first 2 shown]
	v_fmac_f32_e32 v73, v28, v0
	v_fma_f32 v0, v28, v1, -v29
	v_fmac_f32_e32 v89, v30, v4
	v_fma_f32 v1, v30, v5, -v31
	;; [unrolled: 2-line block ×8, first 2 shown]
	v_add_f32_e32 v8, v73, v89
	v_add_f32_e32 v10, v0, v1
	;; [unrolled: 1-line block ×10, first 2 shown]
	v_sub_f32_e32 v13, v0, v1
	v_sub_f32_e32 v14, v73, v89
	v_add_f32_e32 v12, v83, v90
	v_sub_f32_e32 v16, v2, v5
	v_add_f32_e32 v17, v84, v2
	;; [unrolled: 2-line block ×3, first 2 shown]
	v_fma_f32 v2, -0.5, v8, v81
	v_fma_f32 v3, -0.5, v10, v82
	v_sub_f32_e32 v19, v90, v91
	v_fma_f32 v83, -0.5, v15, v83
	v_fmac_f32_e32 v84, -0.5, v18
	v_add_f32_e32 v20, v85, v92
	v_sub_f32_e32 v25, v92, v93
	v_add_f32_e32 v26, v87, v94
	v_sub_f32_e32 v28, v4, v11
	;; [unrolled: 2-line block ×3, first 2 shown]
	v_add_f32_e32 v1, v9, v1
	v_fma_f32 v8, -0.5, v21, v85
	v_fma_f32 v9, -0.5, v24, v86
	v_fma_f32 v87, -0.5, v27, v87
	v_fmac_f32_e32 v88, -0.5, v30
	v_add_f32_e32 v0, v6, v89
	v_add_f32_e32 v4, v12, v91
	v_fmamk_f32 v12, v13, 0xbf5db3d7, v2
	v_fmac_f32_e32 v2, 0x3f5db3d7, v13
	v_fmamk_f32 v13, v14, 0x3f5db3d7, v3
	v_fmac_f32_e32 v3, 0xbf5db3d7, v14
	v_add_f32_e32 v5, v17, v5
	v_fmamk_f32 v14, v16, 0xbf5db3d7, v83
	v_fmamk_f32 v15, v19, 0x3f5db3d7, v84
	v_fmac_f32_e32 v83, 0x3f5db3d7, v16
	v_fmac_f32_e32 v84, 0xbf5db3d7, v19
	v_add_f32_e32 v6, v20, v93
	v_add_f32_e32 v7, v23, v7
	;; [unrolled: 1-line block ×4, first 2 shown]
	v_fmamk_f32 v16, v22, 0xbf5db3d7, v8
	v_fmac_f32_e32 v8, 0x3f5db3d7, v22
	v_fmamk_f32 v17, v25, 0x3f5db3d7, v9
	v_fmac_f32_e32 v9, 0xbf5db3d7, v25
	v_fmamk_f32 v18, v28, 0xbf5db3d7, v87
	v_fmamk_f32 v19, v31, 0x3f5db3d7, v88
	v_fmac_f32_e32 v87, 0x3f5db3d7, v28
	v_fmac_f32_e32 v88, 0xbf5db3d7, v31
	ds_write2_b64 v156, v[0:1], v[12:13] offset1:12
	ds_write_b64 v156, v[2:3] offset:192
	ds_write2_b64 v155, v[4:5], v[14:15] offset1:12
	ds_write_b64 v155, v[83:84] offset:192
	;; [unrolled: 2-line block ×4, first 2 shown]
	s_waitcnt lgkmcnt(0)
	s_barrier
	buffer_gl0_inv
	ds_read2_b64 v[4:7], v79 offset0:124 offset1:187
	ds_read2_b64 v[8:11], v78 offset0:120 offset1:183
	;; [unrolled: 1-line block ×4, first 2 shown]
	ds_read2_b64 v[20:23], v134 offset1:63
	ds_read2_b64 v[0:3], v134 offset0:126 offset1:189
	s_waitcnt lgkmcnt(0)
	s_barrier
	buffer_gl0_inv
	v_mul_f32_e32 v24, v45, v5
	v_mul_f32_e32 v25, v45, v4
	;; [unrolled: 1-line block ×16, first 2 shown]
	v_fmac_f32_e32 v24, v44, v4
	v_fma_f32 v4, v44, v5, -v25
	v_fmac_f32_e32 v26, v46, v8
	v_fma_f32 v5, v46, v9, -v27
	;; [unrolled: 2-line block ×8, first 2 shown]
	v_add_f32_e32 v13, v24, v26
	v_sub_f32_e32 v25, v4, v5
	v_add_f32_e32 v15, v21, v4
	v_add_f32_e32 v4, v4, v5
	v_add_f32_e32 v17, v28, v30
	v_sub_f32_e32 v27, v6, v7
	v_add_f32_e32 v18, v23, v6
	v_add_f32_e32 v6, v6, v7
	;; [unrolled: 4-line block ×3, first 2 shown]
	v_add_f32_e32 v12, v20, v24
	v_sub_f32_e32 v24, v24, v26
	v_add_f32_e32 v35, v45, v47
	v_sub_f32_e32 v36, v10, v11
	v_add_f32_e32 v37, v3, v10
	v_add_f32_e32 v10, v10, v11
	v_fma_f32 v14, -0.5, v13, v20
	v_add_f32_e32 v13, v15, v5
	v_fma_f32 v15, -0.5, v4, v21
	v_add_f32_e32 v16, v22, v28
	v_sub_f32_e32 v28, v28, v30
	v_fma_f32 v22, -0.5, v17, v22
	v_fmac_f32_e32 v23, -0.5, v6
	v_add_f32_e32 v19, v0, v41
	v_sub_f32_e32 v33, v41, v43
	v_add_f32_e32 v17, v18, v7
	v_fma_f32 v6, -0.5, v29, v0
	v_fma_f32 v7, -0.5, v8, v1
	v_add_f32_e32 v34, v2, v45
	v_sub_f32_e32 v38, v45, v47
	v_add_f32_e32 v12, v12, v26
	v_fma_f32 v2, -0.5, v35, v2
	v_fmac_f32_e32 v3, -0.5, v10
	v_fmamk_f32 v0, v25, 0xbf5db3d7, v14
	v_fmamk_f32 v1, v24, 0x3f5db3d7, v15
	v_fmac_f32_e32 v14, 0x3f5db3d7, v25
	v_fmac_f32_e32 v15, 0xbf5db3d7, v24
	v_add_f32_e32 v16, v16, v30
	v_fmamk_f32 v20, v27, 0xbf5db3d7, v22
	v_fmamk_f32 v21, v28, 0x3f5db3d7, v23
	v_fmac_f32_e32 v22, 0x3f5db3d7, v27
	v_fmac_f32_e32 v23, 0xbf5db3d7, v28
	v_add_f32_e32 v18, v19, v43
	v_add_f32_e32 v19, v32, v9
	v_fmamk_f32 v4, v31, 0xbf5db3d7, v6
	v_fmamk_f32 v5, v33, 0x3f5db3d7, v7
	v_add_f32_e32 v8, v34, v47
	v_add_f32_e32 v9, v37, v11
	v_fmac_f32_e32 v6, 0x3f5db3d7, v31
	v_fmac_f32_e32 v7, 0xbf5db3d7, v33
	v_fmamk_f32 v10, v36, 0xbf5db3d7, v2
	v_fmac_f32_e32 v2, 0x3f5db3d7, v36
	v_fmamk_f32 v11, v38, 0x3f5db3d7, v3
	v_fmac_f32_e32 v3, 0xbf5db3d7, v38
	ds_write2_b64 v160, v[12:13], v[0:1] offset1:36
	ds_write_b64 v160, v[14:15] offset:576
	ds_write2_b64 v159, v[16:17], v[20:21] offset1:36
	ds_write_b64 v159, v[22:23] offset:576
	;; [unrolled: 2-line block ×4, first 2 shown]
	s_waitcnt lgkmcnt(0)
	s_barrier
	buffer_gl0_inv
	ds_read2_b64 v[12:15], v134 offset1:108
	ds_read2_b64 v[20:23], v79 offset0:88 offset1:196
	ds_read2_b64 v[16:19], v78 offset0:48 offset1:156
	ds_read_b64 v[0:1], v134 offset:5184
	s_and_saveexec_b32 s0, vcc_lo
	s_cbranch_execz .LBB0_7
; %bb.6:
	ds_read2_b64 v[72:75], v78 offset0:111 offset1:219
	ds_read2_b64 v[4:7], v134 offset0:63 offset1:171
	;; [unrolled: 1-line block ×3, first 2 shown]
	ds_read_b64 v[76:77], v134 offset:5688
	s_waitcnt lgkmcnt(3)
	v_mov_b32_e32 v2, v72
	v_mov_b32_e32 v3, v73
.LBB0_7:
	s_or_b32 exec_lo, exec_lo, s0
	s_waitcnt lgkmcnt(3)
	v_mul_f32_e32 v24, v69, v15
	v_mul_f32_e32 v25, v69, v14
	s_waitcnt lgkmcnt(2)
	v_mul_f32_e32 v26, v71, v21
	v_mul_f32_e32 v27, v71, v20
	s_waitcnt lgkmcnt(1)
	v_mul_f32_e32 v28, v67, v17
	v_fmac_f32_e32 v24, v68, v14
	v_fma_f32 v14, v68, v15, -v25
	v_mul_f32_e32 v15, v65, v23
	v_mul_f32_e32 v25, v65, v22
	v_fmac_f32_e32 v26, v70, v20
	v_fma_f32 v20, v70, v21, -v27
	v_fmac_f32_e32 v28, v66, v16
	v_fmac_f32_e32 v15, v64, v22
	v_fma_f32 v21, v64, v23, -v25
	s_waitcnt lgkmcnt(0)
	v_mul_f32_e32 v22, v63, v1
	v_mul_f32_e32 v23, v63, v0
	;; [unrolled: 1-line block ×5, first 2 shown]
	v_fmac_f32_e32 v22, v62, v0
	v_fma_f32 v0, v62, v1, -v23
	v_fma_f32 v1, v66, v17, -v16
	v_fmac_f32_e32 v25, v60, v18
	v_fma_f32 v16, v60, v19, -v27
	v_add_f32_e32 v17, v24, v22
	v_add_f32_e32 v18, v14, v0
	v_sub_f32_e32 v19, v24, v22
	v_sub_f32_e32 v0, v14, v0
	v_add_f32_e32 v14, v26, v25
	v_add_f32_e32 v22, v20, v16
	v_sub_f32_e32 v23, v26, v25
	v_sub_f32_e32 v16, v20, v16
	;; [unrolled: 4-line block ×4, first 2 shown]
	v_sub_f32_e32 v17, v17, v20
	v_sub_f32_e32 v18, v18, v24
	v_sub_f32_e32 v14, v20, v14
	v_sub_f32_e32 v22, v24, v22
	v_add_f32_e32 v28, v15, v23
	v_add_f32_e32 v29, v1, v16
	v_sub_f32_e32 v30, v15, v23
	v_sub_f32_e32 v31, v1, v16
	v_add_f32_e32 v20, v20, v21
	v_add_f32_e32 v21, v24, v25
	v_sub_f32_e32 v23, v23, v19
	v_sub_f32_e32 v16, v16, v0
	;; [unrolled: 1-line block ×4, first 2 shown]
	v_add_f32_e32 v19, v28, v19
	v_add_f32_e32 v24, v29, v0
	;; [unrolled: 1-line block ×4, first 2 shown]
	v_mul_f32_e32 v12, 0x3f4a47b2, v17
	v_mul_f32_e32 v13, 0x3f4a47b2, v18
	;; [unrolled: 1-line block ×8, first 2 shown]
	v_fmamk_f32 v20, v20, 0xbf955555, v0
	v_fmamk_f32 v21, v21, 0xbf955555, v1
	;; [unrolled: 1-line block ×4, first 2 shown]
	v_fma_f32 v17, 0x3f3bfb3b, v26, -v17
	v_fma_f32 v18, 0x3f3bfb3b, v27, -v18
	v_fma_f32 v12, 0xbf3bfb3b, v26, -v12
	v_fma_f32 v13, 0xbf3bfb3b, v27, -v13
	v_fmamk_f32 v26, v15, 0xbeae86e6, v25
	v_fmamk_f32 v27, v32, 0xbeae86e6, v28
	v_fma_f32 v23, 0xbf5ff5aa, v23, -v25
	v_fma_f32 v25, 0xbf5ff5aa, v16, -v28
	;; [unrolled: 1-line block ×4, first 2 shown]
	v_add_f32_e32 v30, v14, v20
	v_add_f32_e32 v31, v22, v21
	v_fmac_f32_e32 v26, 0xbee1c552, v19
	v_fmac_f32_e32 v27, 0xbee1c552, v24
	v_add_f32_e32 v22, v17, v20
	v_add_f32_e32 v32, v18, v21
	;; [unrolled: 1-line block ×4, first 2 shown]
	v_fmac_f32_e32 v23, 0xbee1c552, v19
	v_fmac_f32_e32 v29, 0xbee1c552, v24
	;; [unrolled: 1-line block ×4, first 2 shown]
	v_add_f32_e32 v12, v27, v30
	v_sub_f32_e32 v13, v31, v26
	v_add_f32_e32 v14, v29, v20
	v_sub_f32_e32 v15, v21, v28
	v_sub_f32_e32 v16, v22, v25
	v_add_f32_e32 v17, v23, v32
	v_add_f32_e32 v18, v25, v22
	v_sub_f32_e32 v19, v32, v23
	v_sub_f32_e32 v20, v20, v29
	v_add_f32_e32 v21, v28, v21
	v_sub_f32_e32 v22, v30, v27
	v_add_f32_e32 v23, v26, v31
	ds_write2_b64 v134, v[0:1], v[12:13] offset1:108
	ds_write2_b64 v79, v[14:15], v[16:17] offset0:88 offset1:196
	ds_write2_b64 v78, v[18:19], v[20:21] offset0:48 offset1:156
	ds_write_b64 v134, v[22:23] offset:5184
	s_and_saveexec_b32 s0, vcc_lo
	s_cbranch_execz .LBB0_9
; %bb.8:
	v_mul_f32_e32 v0, v53, v7
	v_mul_f32_e32 v1, v51, v3
	;; [unrolled: 1-line block ×6, first 2 shown]
	v_fmac_f32_e32 v1, v50, v2
	v_fmac_f32_e32 v12, v48, v10
	;; [unrolled: 1-line block ×6, first 2 shown]
	v_mul_f32_e32 v18, v59, v76
	v_mul_f32_e32 v6, v53, v6
	;; [unrolled: 1-line block ×4, first 2 shown]
	v_sub_f32_e32 v16, v1, v12
	v_sub_f32_e32 v17, v13, v14
	;; [unrolled: 1-line block ×3, first 2 shown]
	v_fma_f32 v18, v58, v77, -v18
	v_fma_f32 v6, v52, v7, -v6
	v_mul_f32_e32 v7, v49, v10
	v_mul_f32_e32 v2, v51, v2
	v_fma_f32 v10, v56, v75, -v22
	v_fma_f32 v8, v54, v9, -v8
	v_sub_f32_e32 v20, v16, v17
	v_sub_f32_e32 v21, v19, v16
	v_add_f32_e32 v9, v16, v17
	v_add_f32_e32 v16, v18, v6
	v_fma_f32 v7, v48, v11, -v7
	v_fma_f32 v2, v50, v3, -v2
	v_add_f32_e32 v11, v10, v8
	v_add_f32_e32 v15, v15, v0
	;; [unrolled: 1-line block ×3, first 2 shown]
	v_sub_f32_e32 v17, v17, v19
	v_add_f32_e32 v3, v2, v7
	v_add_f32_e32 v23, v11, v16
	v_sub_f32_e32 v2, v2, v7
	v_sub_f32_e32 v7, v8, v10
	v_add_f32_e32 v9, v9, v19
	v_sub_f32_e32 v24, v16, v3
	v_add_f32_e32 v23, v3, v23
	;; [unrolled: 2-line block ×3, first 2 shown]
	v_sub_f32_e32 v11, v11, v16
	v_mul_f32_e32 v14, 0x3f4a47b2, v24
	v_add_f32_e32 v1, v5, v23
	v_add_f32_e32 v5, v13, v15
	v_mul_f32_e32 v12, 0x3d64c772, v0
	v_sub_f32_e32 v10, v3, v13
	v_fmamk_f32 v24, v0, 0x3d64c772, v14
	v_sub_f32_e32 v0, v15, v3
	v_add_f32_e32 v5, v3, v5
	v_fmamk_f32 v23, v23, 0xbf955555, v1
	v_sub_f32_e32 v3, v2, v7
	v_sub_f32_e32 v13, v13, v15
	v_mul_f32_e32 v8, 0x3f4a47b2, v0
	v_add_f32_e32 v0, v4, v5
	v_sub_f32_e32 v4, v6, v18
	v_mul_f32_e32 v20, 0x3f08b237, v20
	v_add_f32_e32 v18, v24, v23
	v_fmamk_f32 v6, v10, 0x3d64c772, v8
	v_fmamk_f32 v5, v5, 0xbf955555, v0
	v_sub_f32_e32 v15, v7, v4
	v_sub_f32_e32 v24, v4, v2
	v_mul_f32_e32 v25, 0x3f08b237, v3
	v_mul_f32_e32 v10, 0x3d64c772, v10
	v_add_f32_e32 v19, v6, v5
	v_mul_f32_e32 v6, 0xbf5ff5aa, v17
	v_add_f32_e32 v2, v2, v7
	v_fma_f32 v7, 0xbf3bfb3b, v13, -v8
	v_mul_f32_e32 v8, 0xbf5ff5aa, v15
	v_fmamk_f32 v22, v21, 0xbeae86e6, v20
	v_fma_f32 v16, 0x3eae86e6, v21, -v6
	v_fma_f32 v6, 0xbf3bfb3b, v11, -v14
	v_fmamk_f32 v26, v24, 0xbeae86e6, v25
	v_add_f32_e32 v2, v2, v4
	v_fma_f32 v24, 0x3eae86e6, v24, -v8
	v_fma_f32 v4, 0x3f3bfb3b, v11, -v12
	v_add_f32_e32 v14, v6, v23
	v_fma_f32 v8, 0xbf5ff5aa, v17, -v20
	v_fma_f32 v11, 0xbf5ff5aa, v15, -v25
	;; [unrolled: 1-line block ×3, first 2 shown]
	v_fmac_f32_e32 v22, 0xbee1c552, v9
	v_add_f32_e32 v10, v4, v23
	v_fmac_f32_e32 v8, 0xbee1c552, v9
	v_fmac_f32_e32 v11, 0xbee1c552, v2
	v_add_f32_e32 v12, v6, v5
	v_fmac_f32_e32 v26, 0xbee1c552, v2
	;; [unrolled: 3-line block ×3, first 2 shown]
	v_sub_f32_e32 v7, v10, v8
	v_add_f32_e32 v6, v11, v12
	v_add_f32_e32 v9, v8, v10
	v_sub_f32_e32 v8, v12, v11
	v_sub_f32_e32 v13, v18, v22
	v_add_f32_e32 v12, v26, v19
	v_add_f32_e32 v5, v16, v14
	v_sub_f32_e32 v11, v14, v16
	v_add_f32_e32 v10, v24, v21
	v_add_nc_u32_e32 v14, 0x800, v134
	v_sub_f32_e32 v4, v21, v24
	v_add_nc_u32_e32 v15, 0xc00, v134
	v_add_f32_e32 v3, v22, v18
	v_sub_f32_e32 v2, v19, v26
	ds_write2_b64 v134, v[0:1], v[12:13] offset0:63 offset1:171
	ds_write2_b64 v14, v[10:11], v[8:9] offset0:23 offset1:131
	;; [unrolled: 1-line block ×3, first 2 shown]
	ds_write_b64 v134, v[2:3] offset:5688
.LBB0_9:
	s_or_b32 exec_lo, exec_lo, s0
	v_add_nc_u32_e32 v4, 0x800, v134
	s_waitcnt lgkmcnt(0)
	s_barrier
	buffer_gl0_inv
	ds_read2_b64 v[0:3], v134 offset1:63
	ds_read2_b64 v[4:7], v4 offset0:122 offset1:185
	v_mad_u64_u32 v[16:17], null, s10, v98, 0
	v_mad_u64_u32 v[18:19], null, s8, v133, 0
	ds_read2_b64 v[8:11], v134 offset0:126 offset1:189
	s_mov_b32 s0, 0x6b015ac0
	s_mov_b32 s1, 0x3f55ac05
	v_add_nc_u32_e32 v12, 0xc00, v134
	s_mul_i32 s6, s9, 0xbd0
	s_mul_hi_u32 s7, s8, 0xbd0
	v_mad_u64_u32 v[24:25], null, s11, v98, v[17:18]
	s_mul_i32 s4, s8, 0xbd0
	s_add_i32 s7, s7, s6
	v_add_nc_u32_e32 v34, 0x1000, v134
	v_add_nc_u32_e32 v33, 0x400, v134
	s_mul_hi_u32 s12, s8, 0xfffff628
	s_mul_i32 s10, s9, 0xfffff628
	s_waitcnt lgkmcnt(2)
	v_mul_f32_e32 v13, v102, v1
	s_waitcnt lgkmcnt(1)
	v_mul_f32_e32 v15, v122, v5
	v_mul_f32_e32 v14, v102, v0
	;; [unrolled: 1-line block ×4, first 2 shown]
	v_fmac_f32_e32 v13, v101, v0
	v_fmac_f32_e32 v15, v121, v4
	v_fma_f32 v14, v101, v1, -v14
	v_fma_f32 v22, v121, v5, -v20
	v_mul_f32_e32 v29, v120, v7
	v_cvt_f64_f32_e32 v[0:1], v13
	v_cvt_f64_f32_e32 v[20:21], v15
	;; [unrolled: 1-line block ×4, first 2 shown]
	v_mul_f32_e32 v27, v104, v2
	v_fmac_f32_e32 v26, v103, v2
	v_fmac_f32_e32 v29, v119, v6
	s_waitcnt lgkmcnt(0)
	v_mul_f32_e32 v31, v106, v9
	v_mul_f32_e32 v32, v106, v8
	v_fma_f32 v17, v103, v3, -v27
	v_cvt_f64_f32_e32 v[25:26], v26
	ds_read2_b64 v[12:15], v12 offset0:120 offset1:183
	v_fmac_f32_e32 v31, v105, v8
	s_mul_i32 s5, s8, 0xfffff628
	v_cvt_f64_f32_e32 v[27:28], v17
	v_mov_b32_e32 v17, v24
	s_sub_i32 s6, s12, s8
	s_add_i32 s6, s6, s10
	v_mul_f64 v[0:1], v[0:1], s[0:1]
	v_mad_u64_u32 v[2:3], null, s9, v133, v[19:20]
	v_mul_f64 v[3:4], v[4:5], s[0:1]
	v_mul_f32_e32 v19, v120, v6
	v_mul_f64 v[5:6], v[20:21], s[0:1]
	v_mul_f64 v[20:21], v[22:23], s[0:1]
	v_cvt_f64_f32_e32 v[22:23], v29
	v_fma_f32 v7, v119, v7, -v19
	v_mov_b32_e32 v19, v2
	v_fma_f32 v2, v105, v9, -v32
	v_mul_f64 v[24:25], v[25:26], s[0:1]
	s_waitcnt lgkmcnt(0)
	v_mul_f32_e32 v9, v118, v12
	v_cvt_f64_f32_e32 v[29:30], v7
	v_lshlrev_b64 v[7:8], 3, v[16:17]
	v_lshlrev_b64 v[16:17], 3, v[18:19]
	v_cvt_f64_f32_e32 v[18:19], v31
	v_cvt_f64_f32_e32 v[31:32], v2
	v_mul_f64 v[26:27], v[27:28], s[0:1]
	v_mul_f32_e32 v35, v118, v13
	v_cvt_f32_f64_e32 v0, v[0:1]
	v_fmac_f32_e32 v35, v117, v12
	v_cvt_f32_f64_e32 v1, v[3:4]
	v_cvt_f32_f64_e32 v2, v[5:6]
	;; [unrolled: 1-line block ×3, first 2 shown]
	v_mul_f64 v[4:5], v[22:23], s[0:1]
	v_add_co_u32 v6, vcc_lo, s2, v7
	v_add_co_ci_u32_e32 v7, vcc_lo, s3, v8, vcc_lo
	v_cvt_f32_f64_e32 v22, v[24:25]
	v_add_co_u32 v6, vcc_lo, v6, v16
	v_add_co_ci_u32_e32 v7, vcc_lo, v7, v17, vcc_lo
	v_fma_f32 v20, v117, v13, -v9
	v_add_co_u32 v16, vcc_lo, v6, s4
	v_add_co_ci_u32_e32 v17, vcc_lo, s7, v7, vcc_lo
	v_mul_f64 v[8:9], v[29:30], s[0:1]
	v_cvt_f64_f32_e32 v[12:13], v35
	global_store_dwordx2 v[6:7], v[0:1], off
	global_store_dwordx2 v[16:17], v[2:3], off
	ds_read2_b64 v[0:3], v33 offset0:124 offset1:187
	v_cvt_f32_f64_e32 v24, v[4:5]
	ds_read2_b64 v[4:7], v34 offset0:118 offset1:181
	v_cvt_f64_f32_e32 v[20:21], v20
	v_cvt_f32_f64_e32 v23, v[26:27]
	v_mul_f32_e32 v26, v100, v11
	v_mul_f32_e32 v27, v100, v10
	;; [unrolled: 1-line block ×3, first 2 shown]
	v_mul_f64 v[18:19], v[18:19], s[0:1]
	v_add_co_u32 v16, vcc_lo, v16, s5
	v_fmac_f32_e32 v26, v99, v10
	v_fma_f32 v28, v99, v11, -v27
	v_mul_f64 v[10:11], v[31:32], s[0:1]
	v_mul_f32_e32 v31, v112, v14
	v_fmac_f32_e32 v30, v111, v14
	v_cvt_f64_f32_e32 v[26:27], v26
	v_cvt_f64_f32_e32 v[28:29], v28
	v_cvt_f32_f64_e32 v25, v[8:9]
	v_fma_f32 v14, v111, v15, -v31
	s_waitcnt lgkmcnt(1)
	v_mul_f32_e32 v32, v110, v1
	v_mul_f32_e32 v33, v110, v0
	s_waitcnt lgkmcnt(0)
	v_mul_f32_e32 v34, v108, v5
	v_mul_f32_e32 v36, v114, v3
	;; [unrolled: 1-line block ×5, first 2 shown]
	v_fmac_f32_e32 v34, v107, v4
	v_mul_f32_e32 v4, v108, v4
	v_fmac_f32_e32 v32, v109, v0
	v_fma_f32 v33, v109, v1, -v33
	v_fmac_f32_e32 v36, v113, v2
	v_fma_f32 v37, v113, v3, -v37
	v_fma_f32 v4, v107, v5, -v4
	v_cvt_f64_f32_e32 v[0:1], v30
	v_cvt_f64_f32_e32 v[14:15], v14
	v_fmac_f32_e32 v38, v115, v6
	v_fma_f32 v39, v115, v7, -v39
	v_mul_f64 v[12:13], v[12:13], s[0:1]
	v_mul_f64 v[20:21], v[20:21], s[0:1]
	v_cvt_f64_f32_e32 v[30:31], v32
	v_cvt_f64_f32_e32 v[32:33], v33
	;; [unrolled: 1-line block ×8, first 2 shown]
	v_add_co_ci_u32_e32 v17, vcc_lo, s6, v17, vcc_lo
	v_add_co_u32 v8, vcc_lo, v16, s4
	v_add_co_ci_u32_e32 v9, vcc_lo, s7, v17, vcc_lo
	global_store_dwordx2 v[16:17], v[22:23], off
	global_store_dwordx2 v[8:9], v[24:25], off
	v_cvt_f32_f64_e32 v16, v[18:19]
	v_cvt_f32_f64_e32 v17, v[10:11]
	v_mul_f64 v[10:11], v[26:27], s[0:1]
	v_mul_f64 v[18:19], v[28:29], s[0:1]
	;; [unrolled: 1-line block ×4, first 2 shown]
	v_cvt_f32_f64_e32 v12, v[12:13]
	v_cvt_f32_f64_e32 v13, v[20:21]
	v_mul_f64 v[20:21], v[30:31], s[0:1]
	v_mul_f64 v[22:23], v[32:33], s[0:1]
	;; [unrolled: 1-line block ×8, first 2 shown]
	v_add_co_u32 v8, vcc_lo, v8, s5
	v_add_co_ci_u32_e32 v9, vcc_lo, s6, v9, vcc_lo
	v_add_co_u32 v30, vcc_lo, v8, s4
	v_add_co_ci_u32_e32 v31, vcc_lo, s7, v9, vcc_lo
	v_cvt_f32_f64_e32 v10, v[10:11]
	v_cvt_f32_f64_e32 v11, v[18:19]
	v_add_co_u32 v18, vcc_lo, v30, s5
	v_add_co_ci_u32_e32 v19, vcc_lo, s6, v31, vcc_lo
	v_cvt_f32_f64_e32 v0, v[0:1]
	v_cvt_f32_f64_e32 v1, v[14:15]
	;; [unrolled: 4-line block ×3, first 2 shown]
	v_cvt_f32_f64_e32 v22, v[24:25]
	v_cvt_f32_f64_e32 v23, v[2:3]
	;; [unrolled: 1-line block ×6, first 2 shown]
	v_add_co_u32 v6, vcc_lo, v14, s5
	v_add_co_ci_u32_e32 v7, vcc_lo, s6, v15, vcc_lo
	global_store_dwordx2 v[8:9], v[16:17], off
	v_add_co_u32 v8, vcc_lo, v6, s4
	v_add_co_ci_u32_e32 v9, vcc_lo, s7, v7, vcc_lo
	global_store_dwordx2 v[30:31], v[12:13], off
	;; [unrolled: 3-line block ×4, first 2 shown]
	global_store_dwordx2 v[6:7], v[20:21], off
	global_store_dwordx2 v[8:9], v[22:23], off
	;; [unrolled: 1-line block ×4, first 2 shown]
.LBB0_10:
	s_endpgm
	.section	.rodata,"a",@progbits
	.p2align	6, 0x0
	.amdhsa_kernel bluestein_single_fwd_len756_dim1_sp_op_CI_CI
		.amdhsa_group_segment_fixed_size 6048
		.amdhsa_private_segment_fixed_size 0
		.amdhsa_kernarg_size 104
		.amdhsa_user_sgpr_count 6
		.amdhsa_user_sgpr_private_segment_buffer 1
		.amdhsa_user_sgpr_dispatch_ptr 0
		.amdhsa_user_sgpr_queue_ptr 0
		.amdhsa_user_sgpr_kernarg_segment_ptr 1
		.amdhsa_user_sgpr_dispatch_id 0
		.amdhsa_user_sgpr_flat_scratch_init 0
		.amdhsa_user_sgpr_private_segment_size 0
		.amdhsa_wavefront_size32 1
		.amdhsa_uses_dynamic_stack 0
		.amdhsa_system_sgpr_private_segment_wavefront_offset 0
		.amdhsa_system_sgpr_workgroup_id_x 1
		.amdhsa_system_sgpr_workgroup_id_y 0
		.amdhsa_system_sgpr_workgroup_id_z 0
		.amdhsa_system_sgpr_workgroup_info 0
		.amdhsa_system_vgpr_workitem_id 0
		.amdhsa_next_free_vgpr 193
		.amdhsa_next_free_sgpr 20
		.amdhsa_reserve_vcc 1
		.amdhsa_reserve_flat_scratch 0
		.amdhsa_float_round_mode_32 0
		.amdhsa_float_round_mode_16_64 0
		.amdhsa_float_denorm_mode_32 3
		.amdhsa_float_denorm_mode_16_64 3
		.amdhsa_dx10_clamp 1
		.amdhsa_ieee_mode 1
		.amdhsa_fp16_overflow 0
		.amdhsa_workgroup_processor_mode 1
		.amdhsa_memory_ordered 1
		.amdhsa_forward_progress 0
		.amdhsa_shared_vgpr_count 0
		.amdhsa_exception_fp_ieee_invalid_op 0
		.amdhsa_exception_fp_denorm_src 0
		.amdhsa_exception_fp_ieee_div_zero 0
		.amdhsa_exception_fp_ieee_overflow 0
		.amdhsa_exception_fp_ieee_underflow 0
		.amdhsa_exception_fp_ieee_inexact 0
		.amdhsa_exception_int_div_zero 0
	.end_amdhsa_kernel
	.text
.Lfunc_end0:
	.size	bluestein_single_fwd_len756_dim1_sp_op_CI_CI, .Lfunc_end0-bluestein_single_fwd_len756_dim1_sp_op_CI_CI
                                        ; -- End function
	.section	.AMDGPU.csdata,"",@progbits
; Kernel info:
; codeLenInByte = 11752
; NumSgprs: 22
; NumVgprs: 193
; ScratchSize: 0
; MemoryBound: 0
; FloatMode: 240
; IeeeMode: 1
; LDSByteSize: 6048 bytes/workgroup (compile time only)
; SGPRBlocks: 2
; VGPRBlocks: 24
; NumSGPRsForWavesPerEU: 22
; NumVGPRsForWavesPerEU: 193
; Occupancy: 4
; WaveLimiterHint : 1
; COMPUTE_PGM_RSRC2:SCRATCH_EN: 0
; COMPUTE_PGM_RSRC2:USER_SGPR: 6
; COMPUTE_PGM_RSRC2:TRAP_HANDLER: 0
; COMPUTE_PGM_RSRC2:TGID_X_EN: 1
; COMPUTE_PGM_RSRC2:TGID_Y_EN: 0
; COMPUTE_PGM_RSRC2:TGID_Z_EN: 0
; COMPUTE_PGM_RSRC2:TIDIG_COMP_CNT: 0
	.text
	.p2alignl 6, 3214868480
	.fill 48, 4, 3214868480
	.type	__hip_cuid_f5e6782ef7d7552d,@object ; @__hip_cuid_f5e6782ef7d7552d
	.section	.bss,"aw",@nobits
	.globl	__hip_cuid_f5e6782ef7d7552d
__hip_cuid_f5e6782ef7d7552d:
	.byte	0                               ; 0x0
	.size	__hip_cuid_f5e6782ef7d7552d, 1

	.ident	"AMD clang version 19.0.0git (https://github.com/RadeonOpenCompute/llvm-project roc-6.4.0 25133 c7fe45cf4b819c5991fe208aaa96edf142730f1d)"
	.section	".note.GNU-stack","",@progbits
	.addrsig
	.addrsig_sym __hip_cuid_f5e6782ef7d7552d
	.amdgpu_metadata
---
amdhsa.kernels:
  - .args:
      - .actual_access:  read_only
        .address_space:  global
        .offset:         0
        .size:           8
        .value_kind:     global_buffer
      - .actual_access:  read_only
        .address_space:  global
        .offset:         8
        .size:           8
        .value_kind:     global_buffer
      - .actual_access:  read_only
        .address_space:  global
        .offset:         16
        .size:           8
        .value_kind:     global_buffer
      - .actual_access:  read_only
        .address_space:  global
        .offset:         24
        .size:           8
        .value_kind:     global_buffer
      - .actual_access:  read_only
        .address_space:  global
        .offset:         32
        .size:           8
        .value_kind:     global_buffer
      - .offset:         40
        .size:           8
        .value_kind:     by_value
      - .address_space:  global
        .offset:         48
        .size:           8
        .value_kind:     global_buffer
      - .address_space:  global
        .offset:         56
        .size:           8
        .value_kind:     global_buffer
      - .address_space:  global
        .offset:         64
        .size:           8
        .value_kind:     global_buffer
      - .address_space:  global
        .offset:         72
        .size:           8
        .value_kind:     global_buffer
      - .offset:         80
        .size:           4
        .value_kind:     by_value
      - .address_space:  global
        .offset:         88
        .size:           8
        .value_kind:     global_buffer
      - .address_space:  global
        .offset:         96
        .size:           8
        .value_kind:     global_buffer
    .group_segment_fixed_size: 6048
    .kernarg_segment_align: 8
    .kernarg_segment_size: 104
    .language:       OpenCL C
    .language_version:
      - 2
      - 0
    .max_flat_workgroup_size: 63
    .name:           bluestein_single_fwd_len756_dim1_sp_op_CI_CI
    .private_segment_fixed_size: 0
    .sgpr_count:     22
    .sgpr_spill_count: 0
    .symbol:         bluestein_single_fwd_len756_dim1_sp_op_CI_CI.kd
    .uniform_work_group_size: 1
    .uses_dynamic_stack: false
    .vgpr_count:     193
    .vgpr_spill_count: 0
    .wavefront_size: 32
    .workgroup_processor_mode: 1
amdhsa.target:   amdgcn-amd-amdhsa--gfx1030
amdhsa.version:
  - 1
  - 2
...

	.end_amdgpu_metadata
